;; amdgpu-corpus repo=ROCm/rocFFT kind=compiled arch=gfx1030 opt=O3
	.text
	.amdgcn_target "amdgcn-amd-amdhsa--gfx1030"
	.amdhsa_code_object_version 6
	.protected	fft_rtc_back_len240_factors_2_3_4_5_2_wgs_140_tpt_20_dim3_sp_ip_CI_sbcc_twdbase8_2step_dirReg ; -- Begin function fft_rtc_back_len240_factors_2_3_4_5_2_wgs_140_tpt_20_dim3_sp_ip_CI_sbcc_twdbase8_2step_dirReg
	.globl	fft_rtc_back_len240_factors_2_3_4_5_2_wgs_140_tpt_20_dim3_sp_ip_CI_sbcc_twdbase8_2step_dirReg
	.p2align	8
	.type	fft_rtc_back_len240_factors_2_3_4_5_2_wgs_140_tpt_20_dim3_sp_ip_CI_sbcc_twdbase8_2step_dirReg,@function
fft_rtc_back_len240_factors_2_3_4_5_2_wgs_140_tpt_20_dim3_sp_ip_CI_sbcc_twdbase8_2step_dirReg: ; @fft_rtc_back_len240_factors_2_3_4_5_2_wgs_140_tpt_20_dim3_sp_ip_CI_sbcc_twdbase8_2step_dirReg
; %bb.0:
	s_load_dwordx4 s[0:3], s[4:5], 0x10
	s_waitcnt lgkmcnt(0)
	s_load_dwordx2 s[12:13], s[0:1], 0x8
	s_waitcnt lgkmcnt(0)
	s_add_u32 s7, s12, -1
	s_addc_u32 s8, s13, -1
	s_add_u32 s9, 0, 0x92481000
	s_addc_u32 s10, 0, 0x64
	s_mul_hi_u32 s14, s9, -7
	s_add_i32 s10, s10, 0x249248c0
	s_sub_i32 s14, s14, s9
	s_mul_i32 s16, s10, -7
	s_mul_i32 s11, s9, -7
	s_add_i32 s14, s14, s16
	s_mul_hi_u32 s15, s9, s11
	s_mul_i32 s18, s9, s14
	s_mul_hi_u32 s16, s9, s14
	s_mul_hi_u32 s17, s10, s11
	s_mul_i32 s11, s10, s11
	s_add_u32 s15, s15, s18
	s_addc_u32 s16, 0, s16
	s_mul_hi_u32 s19, s10, s14
	s_add_u32 s11, s15, s11
	s_mul_i32 s14, s10, s14
	s_addc_u32 s11, s16, s17
	s_addc_u32 s15, s19, 0
	s_add_u32 s11, s11, s14
	v_add_co_u32 v1, s9, s9, s11
	s_addc_u32 s11, 0, s15
	s_cmp_lg_u32 s9, 0
	s_addc_u32 s9, s10, s11
	v_readfirstlane_b32 s10, v1
	s_mul_i32 s14, s7, s9
	s_mul_hi_u32 s11, s7, s9
	s_mul_hi_u32 s15, s8, s9
	s_mul_i32 s9, s8, s9
	s_mul_hi_u32 s16, s7, s10
	s_mul_hi_u32 s17, s8, s10
	s_mul_i32 s10, s8, s10
	s_add_u32 s14, s16, s14
	s_addc_u32 s11, 0, s11
	s_add_u32 s10, s14, s10
	s_addc_u32 s10, s11, s17
	s_addc_u32 s11, s15, 0
	s_add_u32 s9, s10, s9
	s_addc_u32 s10, 0, s11
	s_mul_i32 s14, s9, 7
	s_add_u32 s11, s9, 1
	v_sub_co_u32 v1, s7, s7, s14
	s_mul_hi_u32 s14, s9, 7
	s_addc_u32 s15, s10, 0
	s_mul_i32 s16, s10, 7
	v_sub_co_u32 v2, s17, v1, 7
	s_add_u32 s18, s9, 2
	s_addc_u32 s19, s10, 0
	s_add_i32 s14, s14, s16
	s_cmp_lg_u32 s7, 0
	v_readfirstlane_b32 s7, v2
	s_subb_u32 s8, s8, s14
	s_cmp_lg_u32 s17, 0
	s_subb_u32 s14, s8, 0
	s_cmp_gt_u32 s7, 6
	s_cselect_b32 s7, -1, 0
	s_cmp_eq_u32 s14, 0
	v_readfirstlane_b32 s14, v1
	s_cselect_b32 s7, s7, -1
	s_cmp_lg_u32 s7, 0
	s_cselect_b32 s11, s18, s11
	s_cselect_b32 s15, s19, s15
	s_cmp_gt_u32 s14, 6
	s_mov_b64 s[18:19], 0
	s_cselect_b32 s7, -1, 0
	s_cmp_eq_u32 s8, 0
	s_cselect_b32 s7, s7, -1
	s_cmp_lg_u32 s7, 0
	s_mov_b32 s7, 0
	s_cselect_b32 s8, s11, s9
	s_cselect_b32 s9, s15, s10
	s_add_u32 s14, s8, 1
	s_addc_u32 s15, s9, 0
	v_cmp_lt_u64_e64 s8, s[6:7], s[14:15]
	s_and_b32 vcc_lo, exec_lo, s8
	s_cbranch_vccnz .LBB0_2
; %bb.1:
	v_cvt_f32_u32_e32 v1, s14
	s_sub_i32 s9, 0, s14
	s_mov_b32 s19, s7
	v_rcp_iflag_f32_e32 v1, v1
	v_mul_f32_e32 v1, 0x4f7ffffe, v1
	v_cvt_u32_f32_e32 v1, v1
	v_readfirstlane_b32 s8, v1
	s_mul_i32 s9, s9, s8
	s_mul_hi_u32 s9, s8, s9
	s_add_i32 s8, s8, s9
	s_mul_hi_u32 s8, s6, s8
	s_mul_i32 s9, s8, s14
	s_add_i32 s10, s8, 1
	s_sub_i32 s9, s6, s9
	s_sub_i32 s11, s9, s14
	s_cmp_ge_u32 s9, s14
	s_cselect_b32 s8, s10, s8
	s_cselect_b32 s9, s11, s9
	s_add_i32 s10, s8, 1
	s_cmp_ge_u32 s9, s14
	s_cselect_b32 s18, s10, s8
.LBB0_2:
	s_load_dwordx2 s[22:23], s[0:1], 0x10
	s_load_dwordx2 s[10:11], s[2:3], 0x8
	s_mov_b64 s[16:17], s[18:19]
	s_waitcnt lgkmcnt(0)
	v_cmp_lt_u64_e64 s0, s[18:19], s[22:23]
	s_and_b32 vcc_lo, exec_lo, s0
	s_cbranch_vccnz .LBB0_4
; %bb.3:
	v_cvt_f32_u32_e32 v1, s22
	s_sub_i32 s1, 0, s22
	v_rcp_iflag_f32_e32 v1, v1
	v_mul_f32_e32 v1, 0x4f7ffffe, v1
	v_cvt_u32_f32_e32 v1, v1
	v_readfirstlane_b32 s0, v1
	s_mul_i32 s1, s1, s0
	s_mul_hi_u32 s1, s0, s1
	s_add_i32 s0, s0, s1
	s_mul_hi_u32 s0, s18, s0
	s_mul_i32 s0, s0, s22
	s_sub_i32 s0, s18, s0
	s_sub_i32 s1, s0, s22
	s_cmp_ge_u32 s0, s22
	s_cselect_b32 s0, s1, s0
	s_sub_i32 s1, s0, s22
	s_cmp_ge_u32 s0, s22
	s_cselect_b32 s16, s1, s0
.LBB0_4:
	s_load_dwordx2 s[8:9], s[4:5], 0x50
	s_clause 0x1
	s_load_dwordx2 s[0:1], s[2:3], 0x0
	s_load_dwordx2 s[20:21], s[2:3], 0x10
	s_mul_i32 s17, s22, s15
	s_mul_hi_u32 s19, s22, s14
	s_mul_i32 s24, s22, s14
	s_add_i32 s17, s19, s17
	s_mul_i32 s19, s23, s14
	s_mov_b64 s[22:23], 0
	s_add_i32 s25, s17, s19
	v_cmp_lt_u64_e64 s7, s[6:7], s[24:25]
	s_and_b32 vcc_lo, exec_lo, s7
	s_cbranch_vccnz .LBB0_6
; %bb.5:
	v_cvt_f32_u32_e32 v1, s24
	s_sub_i32 s17, 0, s24
	v_rcp_iflag_f32_e32 v1, v1
	v_mul_f32_e32 v1, 0x4f7ffffe, v1
	v_cvt_u32_f32_e32 v1, v1
	v_readfirstlane_b32 s7, v1
	s_mul_i32 s17, s17, s7
	s_mul_hi_u32 s17, s7, s17
	s_add_i32 s7, s7, s17
	s_mul_hi_u32 s7, s6, s7
	s_mul_i32 s17, s7, s24
	s_add_i32 s19, s7, 1
	s_sub_i32 s17, s6, s17
	s_sub_i32 s22, s17, s24
	s_cmp_ge_u32 s17, s24
	s_cselect_b32 s7, s19, s7
	s_cselect_b32 s17, s22, s17
	s_add_i32 s19, s7, 1
	s_cmp_ge_u32 s17, s24
	s_cselect_b32 s22, s19, s7
.LBB0_6:
	s_load_dwordx2 s[2:3], s[2:3], 0x18
	s_mul_i32 s7, s18, s15
	s_mul_hi_u32 s15, s18, s14
	s_mul_i32 s14, s18, s14
	v_mul_u32_u24_e32 v1, 0x2493, v0
	s_add_i32 s15, s15, s7
	s_sub_u32 s6, s6, s14
	s_subb_u32 s7, 0, s15
	s_mul_hi_u32 s14, s6, 7
	s_mul_i32 s7, s7, 7
	v_lshrrev_b32_e32 v39, 16, v1
	s_add_i32 s17, s14, s7
	s_mul_i32 s18, s6, 7
	s_mul_i32 s6, s10, s17
	s_mul_hi_u32 s7, s10, s18
	v_mul_lo_u16 v1, v39, 7
	s_add_i32 s14, s7, s6
	s_mul_i32 s15, s11, s18
	s_load_dwordx2 s[6:7], s[4:5], 0x0
	s_add_i32 s14, s14, s15
	s_waitcnt lgkmcnt(0)
	s_mul_i32 s15, s21, s16
	s_mul_hi_u32 s19, s20, s16
	s_mul_i32 s21, s10, s18
	s_add_i32 s19, s19, s15
	s_mul_i32 s15, s20, s16
	v_sub_nc_u16 v34, v0, v1
	s_mul_i32 s3, s3, s22
	s_mul_hi_u32 s16, s2, s22
	s_add_u32 s15, s15, s21
	s_mul_i32 s2, s2, s22
	s_addc_u32 s14, s19, s14
	s_add_i32 s16, s16, s3
	s_add_u32 s2, s2, s15
	s_addc_u32 s3, s16, s14
	v_and_b32_e32 v33, 0xffff, v34
	s_add_u32 s14, s18, 7
	s_addc_u32 s15, s17, 0
	v_cmp_gt_u64_e64 s16, s[14:15], s[12:13]
	v_add_co_u32 v17, s18, s18, v33
	v_cmp_le_u64_e64 s14, s[14:15], s[12:13]
	v_add_co_ci_u32_e64 v18, null, s17, 0, s18
	s_and_b32 vcc_lo, exec_lo, s16
	s_cbranch_vccz .LBB0_12
; %bb.7:
	s_mov_b32 s15, exec_lo
                                        ; implicit-def: $vgpr35
                                        ; implicit-def: $vgpr38
                                        ; implicit-def: $vgpr40
                                        ; implicit-def: $vgpr36
                                        ; implicit-def: $vgpr37
	v_cmpx_le_u64_e64 s[12:13], v[17:18]
	s_xor_b32 s15, exec_lo, s15
; %bb.8:
	v_add_nc_u32_e32 v35, 20, v39
	v_add_nc_u32_e32 v38, 40, v39
	;; [unrolled: 1-line block ×5, first 2 shown]
; %bb.9:
	s_or_saveexec_b32 s15, s15
                                        ; implicit-def: $vgpr1
                                        ; implicit-def: $vgpr21
                                        ; implicit-def: $vgpr13
                                        ; implicit-def: $vgpr9
                                        ; implicit-def: $vgpr15
                                        ; implicit-def: $vgpr11
                                        ; implicit-def: $vgpr19
                                        ; implicit-def: $vgpr25
                                        ; implicit-def: $vgpr23
                                        ; implicit-def: $vgpr3
                                        ; implicit-def: $vgpr7
                                        ; implicit-def: $vgpr5
	s_xor_b32 exec_lo, exec_lo, s15
	s_cbranch_execz .LBB0_11
; %bb.10:
	v_mad_u64_u32 v[1:2], null, s10, v33, 0
	v_mad_u64_u32 v[3:4], null, s0, v39, 0
	v_add_nc_u32_e32 v11, 0x78, v39
	v_add_nc_u32_e32 v35, 20, v39
	v_add_nc_u32_e32 v13, 0x8c, v39
	s_lshl_b64 s[16:17], s[2:3], 3
	v_add_nc_u32_e32 v38, 40, v39
	s_add_u32 s16, s8, s16
	v_mad_u64_u32 v[5:6], null, s11, v33, v[2:3]
	v_mad_u64_u32 v[9:10], null, s0, v35, 0
	s_addc_u32 s17, s9, s17
	v_add_nc_u32_e32 v23, 0xa0, v39
	v_add_nc_u32_e32 v40, 60, v39
	;; [unrolled: 1-line block ×3, first 2 shown]
	v_mad_u64_u32 v[6:7], null, s1, v39, v[4:5]
	v_mad_u64_u32 v[7:8], null, s0, v11, 0
	v_mov_b32_e32 v2, v5
	v_mad_u64_u32 v[21:22], null, s0, v40, 0
	v_add_nc_u32_e32 v28, 0xc8, v39
	v_mov_b32_e32 v4, v6
	v_mov_b32_e32 v6, v10
	;; [unrolled: 1-line block ×3, first 2 shown]
	v_lshlrev_b64 v[1:2], 3, v[1:2]
	v_add_nc_u32_e32 v37, 0x64, v39
	v_lshlrev_b64 v[3:4], 3, v[3:4]
	v_mad_u64_u32 v[10:11], null, s1, v11, v[5:6]
	v_mad_u64_u32 v[5:6], null, s1, v35, v[6:7]
	;; [unrolled: 1-line block ×3, first 2 shown]
	v_add_co_u32 v44, vcc_lo, s16, v1
	v_add_co_ci_u32_e32 v45, vcc_lo, s17, v2, vcc_lo
	v_mov_b32_e32 v8, v10
	v_add_co_u32 v1, vcc_lo, v44, v3
	v_add_co_ci_u32_e32 v2, vcc_lo, v45, v4, vcc_lo
	v_mov_b32_e32 v10, v5
	v_lshlrev_b64 v[4:5], 3, v[7:8]
	v_mov_b32_e32 v3, v12
	v_mad_u64_u32 v[6:7], null, s1, v13, v[3:4]
	v_lshlrev_b64 v[7:8], 3, v[9:10]
	v_mad_u64_u32 v[9:10], null, s0, v38, 0
	v_add_co_u32 v3, vcc_lo, v44, v4
	v_add_co_ci_u32_e32 v4, vcc_lo, v45, v5, vcc_lo
	v_mov_b32_e32 v12, v6
	v_add_co_u32 v13, vcc_lo, v44, v7
	v_mov_b32_e32 v5, v10
	v_add_co_ci_u32_e32 v14, vcc_lo, v45, v8, vcc_lo
	v_lshlrev_b64 v[6:7], 3, v[11:12]
	v_mad_u64_u32 v[11:12], null, s0, v23, 0
	v_mad_u64_u32 v[15:16], null, s1, v38, v[5:6]
	v_add_co_u32 v19, vcc_lo, v44, v6
	v_mov_b32_e32 v5, v12
	v_add_co_ci_u32_e32 v20, vcc_lo, v45, v7, vcc_lo
	v_mov_b32_e32 v10, v15
	v_mad_u64_u32 v[15:16], null, s1, v23, v[5:6]
	s_clause 0x3
	global_load_dwordx2 v[5:6], v[1:2], off
	global_load_dwordx2 v[7:8], v[3:4], off
	;; [unrolled: 1-line block ×4, first 2 shown]
	v_mov_b32_e32 v13, v22
	v_add_nc_u32_e32 v16, 0xb4, v39
	v_mad_u64_u32 v[19:20], null, s0, v36, 0
	v_mad_u64_u32 v[23:24], null, s0, v28, 0
	;; [unrolled: 1-line block ×3, first 2 shown]
	v_mov_b32_e32 v12, v15
	v_mad_u64_u32 v[14:15], null, s0, v16, 0
	v_lshlrev_b64 v[9:10], 3, v[9:10]
	v_lshlrev_b64 v[11:12], 3, v[11:12]
	v_mov_b32_e32 v22, v13
	v_mov_b32_e32 v13, v15
	v_add_co_u32 v9, vcc_lo, v44, v9
	v_add_co_ci_u32_e32 v10, vcc_lo, v45, v10, vcc_lo
	v_mad_u64_u32 v[15:16], null, s1, v16, v[13:14]
	v_mov_b32_e32 v13, v20
	v_add_nc_u32_e32 v16, 0xdc, v39
	v_lshlrev_b64 v[20:21], 3, v[21:22]
	v_add_co_u32 v11, vcc_lo, v44, v11
	v_mad_u64_u32 v[25:26], null, s1, v36, v[13:14]
	v_mov_b32_e32 v13, v24
	v_mad_u64_u32 v[26:27], null, s0, v37, 0
	v_add_co_ci_u32_e32 v12, vcc_lo, v45, v12, vcc_lo
	v_mad_u64_u32 v[28:29], null, s1, v28, v[13:14]
	v_mad_u64_u32 v[29:30], null, s0, v16, 0
	v_lshlrev_b64 v[14:15], 3, v[14:15]
	v_mov_b32_e32 v13, v27
	v_add_co_u32 v31, vcc_lo, v44, v20
	v_add_co_ci_u32_e32 v32, vcc_lo, v45, v21, vcc_lo
	v_mad_u64_u32 v[21:22], null, s1, v37, v[13:14]
	v_mov_b32_e32 v13, v30
	v_add_co_u32 v14, vcc_lo, v44, v14
	v_mov_b32_e32 v20, v25
	v_mov_b32_e32 v24, v28
	v_add_co_ci_u32_e32 v15, vcc_lo, v45, v15, vcc_lo
	v_mad_u64_u32 v[41:42], null, s1, v16, v[13:14]
	v_lshlrev_b64 v[19:20], 3, v[19:20]
	v_mov_b32_e32 v27, v21
	v_lshlrev_b64 v[22:23], 3, v[23:24]
	v_add_co_u32 v42, vcc_lo, v44, v19
	v_mov_b32_e32 v30, v41
	v_add_co_ci_u32_e32 v43, vcc_lo, v45, v20, vcc_lo
	v_lshlrev_b64 v[19:20], 3, v[26:27]
	v_add_co_u32 v27, vcc_lo, v44, v22
	v_lshlrev_b64 v[21:22], 3, v[29:30]
	v_add_co_ci_u32_e32 v28, vcc_lo, v45, v23, vcc_lo
	v_add_co_u32 v29, vcc_lo, v44, v19
	v_add_co_ci_u32_e32 v30, vcc_lo, v45, v20, vcc_lo
	v_add_co_u32 v44, vcc_lo, v44, v21
	v_add_co_ci_u32_e32 v45, vcc_lo, v45, v22, vcc_lo
	s_clause 0x7
	global_load_dwordx2 v[23:24], v[9:10], off
	global_load_dwordx2 v[25:26], v[11:12], off
	;; [unrolled: 1-line block ×8, first 2 shown]
.LBB0_11:
	s_or_b32 exec_lo, exec_lo, s15
	s_cbranch_execz .LBB0_13
	s_branch .LBB0_14
.LBB0_12:
                                        ; implicit-def: $vgpr1
                                        ; implicit-def: $vgpr21
                                        ; implicit-def: $vgpr13
                                        ; implicit-def: $vgpr9
                                        ; implicit-def: $vgpr15
                                        ; implicit-def: $vgpr11
                                        ; implicit-def: $vgpr19
                                        ; implicit-def: $vgpr25
                                        ; implicit-def: $vgpr23
                                        ; implicit-def: $vgpr3
                                        ; implicit-def: $vgpr7
                                        ; implicit-def: $vgpr5
                                        ; implicit-def: $vgpr35
                                        ; implicit-def: $vgpr38
                                        ; implicit-def: $vgpr40
                                        ; implicit-def: $vgpr36
                                        ; implicit-def: $vgpr37
.LBB0_13:
	s_waitcnt vmcnt(8)
	v_mad_u64_u32 v[1:2], null, s10, v33, 0
	v_mad_u64_u32 v[3:4], null, s0, v39, 0
	s_waitcnt vmcnt(3)
	v_add_nc_u32_e32 v11, 0x78, v39
	v_add_nc_u32_e32 v35, 20, v39
	s_waitcnt vmcnt(0)
	v_add_nc_u32_e32 v13, 0x8c, v39
	s_lshl_b64 s[16:17], s[2:3], 3
	v_add_nc_u32_e32 v38, 40, v39
	s_add_u32 s15, s8, s16
	v_mad_u64_u32 v[5:6], null, s11, v33, v[2:3]
	v_mad_u64_u32 v[9:10], null, s0, v35, 0
	s_addc_u32 s16, s9, s17
	v_add_nc_u32_e32 v23, 0xa0, v39
	v_add_nc_u32_e32 v40, 60, v39
	;; [unrolled: 1-line block ×3, first 2 shown]
	v_mad_u64_u32 v[6:7], null, s1, v39, v[4:5]
	v_mad_u64_u32 v[7:8], null, s0, v11, 0
	v_mov_b32_e32 v2, v5
	v_mad_u64_u32 v[21:22], null, s0, v40, 0
	v_add_nc_u32_e32 v28, 0xc8, v39
	v_mov_b32_e32 v4, v6
	v_mov_b32_e32 v6, v10
	;; [unrolled: 1-line block ×3, first 2 shown]
	v_lshlrev_b64 v[1:2], 3, v[1:2]
	v_add_nc_u32_e32 v37, 0x64, v39
	v_lshlrev_b64 v[3:4], 3, v[3:4]
	v_mad_u64_u32 v[10:11], null, s1, v11, v[5:6]
	v_mad_u64_u32 v[5:6], null, s1, v35, v[6:7]
	;; [unrolled: 1-line block ×3, first 2 shown]
	v_add_co_u32 v44, vcc_lo, s15, v1
	v_add_co_ci_u32_e32 v45, vcc_lo, s16, v2, vcc_lo
	v_mov_b32_e32 v8, v10
	v_add_co_u32 v1, vcc_lo, v44, v3
	v_add_co_ci_u32_e32 v2, vcc_lo, v45, v4, vcc_lo
	v_mov_b32_e32 v10, v5
	v_lshlrev_b64 v[4:5], 3, v[7:8]
	v_mov_b32_e32 v3, v12
	v_mad_u64_u32 v[6:7], null, s1, v13, v[3:4]
	v_lshlrev_b64 v[7:8], 3, v[9:10]
	v_mad_u64_u32 v[9:10], null, s0, v38, 0
	v_add_co_u32 v3, vcc_lo, v44, v4
	v_add_co_ci_u32_e32 v4, vcc_lo, v45, v5, vcc_lo
	v_mov_b32_e32 v12, v6
	v_add_co_u32 v13, vcc_lo, v44, v7
	v_mov_b32_e32 v5, v10
	v_add_co_ci_u32_e32 v14, vcc_lo, v45, v8, vcc_lo
	v_lshlrev_b64 v[6:7], 3, v[11:12]
	v_mad_u64_u32 v[11:12], null, s0, v23, 0
	v_mad_u64_u32 v[15:16], null, s1, v38, v[5:6]
	v_add_co_u32 v19, vcc_lo, v44, v6
	v_mov_b32_e32 v5, v12
	v_add_co_ci_u32_e32 v20, vcc_lo, v45, v7, vcc_lo
	v_mov_b32_e32 v10, v15
	v_mad_u64_u32 v[15:16], null, s1, v23, v[5:6]
	s_clause 0x3
	global_load_dwordx2 v[5:6], v[1:2], off
	global_load_dwordx2 v[7:8], v[3:4], off
	;; [unrolled: 1-line block ×4, first 2 shown]
	v_mov_b32_e32 v13, v22
	v_add_nc_u32_e32 v16, 0xb4, v39
	v_mad_u64_u32 v[19:20], null, s0, v36, 0
	v_mad_u64_u32 v[23:24], null, s0, v28, 0
	;; [unrolled: 1-line block ×3, first 2 shown]
	v_mov_b32_e32 v12, v15
	v_mad_u64_u32 v[14:15], null, s0, v16, 0
	v_lshlrev_b64 v[9:10], 3, v[9:10]
	v_lshlrev_b64 v[11:12], 3, v[11:12]
	v_mov_b32_e32 v22, v13
	v_mov_b32_e32 v13, v15
	v_add_co_u32 v9, vcc_lo, v44, v9
	v_add_co_ci_u32_e32 v10, vcc_lo, v45, v10, vcc_lo
	v_mad_u64_u32 v[15:16], null, s1, v16, v[13:14]
	v_mov_b32_e32 v13, v20
	v_add_nc_u32_e32 v16, 0xdc, v39
	v_lshlrev_b64 v[20:21], 3, v[21:22]
	v_add_co_u32 v11, vcc_lo, v44, v11
	v_mad_u64_u32 v[25:26], null, s1, v36, v[13:14]
	v_mov_b32_e32 v13, v24
	v_mad_u64_u32 v[26:27], null, s0, v37, 0
	v_add_co_ci_u32_e32 v12, vcc_lo, v45, v12, vcc_lo
	v_mad_u64_u32 v[28:29], null, s1, v28, v[13:14]
	v_mad_u64_u32 v[29:30], null, s0, v16, 0
	v_lshlrev_b64 v[14:15], 3, v[14:15]
	v_mov_b32_e32 v13, v27
	v_add_co_u32 v31, vcc_lo, v44, v20
	v_add_co_ci_u32_e32 v32, vcc_lo, v45, v21, vcc_lo
	v_mad_u64_u32 v[21:22], null, s1, v37, v[13:14]
	v_mov_b32_e32 v13, v30
	v_add_co_u32 v14, vcc_lo, v44, v14
	v_mov_b32_e32 v20, v25
	v_mov_b32_e32 v24, v28
	v_add_co_ci_u32_e32 v15, vcc_lo, v45, v15, vcc_lo
	v_mad_u64_u32 v[41:42], null, s1, v16, v[13:14]
	v_lshlrev_b64 v[19:20], 3, v[19:20]
	v_mov_b32_e32 v27, v21
	v_lshlrev_b64 v[22:23], 3, v[23:24]
	v_add_co_u32 v42, vcc_lo, v44, v19
	v_mov_b32_e32 v30, v41
	v_add_co_ci_u32_e32 v43, vcc_lo, v45, v20, vcc_lo
	v_lshlrev_b64 v[19:20], 3, v[26:27]
	v_add_co_u32 v27, vcc_lo, v44, v22
	v_lshlrev_b64 v[21:22], 3, v[29:30]
	v_add_co_ci_u32_e32 v28, vcc_lo, v45, v23, vcc_lo
	v_add_co_u32 v29, vcc_lo, v44, v19
	v_add_co_ci_u32_e32 v30, vcc_lo, v45, v20, vcc_lo
	v_add_co_u32 v44, vcc_lo, v44, v21
	v_add_co_ci_u32_e32 v45, vcc_lo, v45, v22, vcc_lo
	s_clause 0x7
	global_load_dwordx2 v[23:24], v[9:10], off
	global_load_dwordx2 v[25:26], v[11:12], off
	;; [unrolled: 1-line block ×8, first 2 shown]
.LBB0_14:
	v_mov_b32_e32 v50, 3
	s_waitcnt vmcnt(10)
	v_sub_f32_e32 v7, v5, v7
	v_sub_f32_e32 v8, v6, v8
	v_mul_u32_u24_e32 v27, 0x70, v39
	s_waitcnt vmcnt(8)
	v_sub_f32_e32 v1, v3, v1
	v_lshlrev_b32_sdwa v46, v50, v34 dst_sel:DWORD dst_unused:UNUSED_PAD src0_sel:DWORD src1_sel:WORD_0
	v_sub_f32_e32 v2, v4, v2
	v_fma_f32 v5, v5, 2.0, -v7
	v_fma_f32 v6, v6, 2.0, -v8
	v_mul_i32_i24_e32 v28, 0x70, v35
	v_add3_u32 v27, 0, v27, v46
	s_waitcnt vmcnt(6)
	v_sub_f32_e32 v25, v23, v25
	v_fma_f32 v3, v3, 2.0, -v1
	v_sub_f32_e32 v26, v24, v26
	v_fma_f32 v4, v4, 2.0, -v2
	v_add3_u32 v28, 0, v28, v46
	ds_write2_b64 v27, v[5:6], v[7:8] offset1:7
	v_mul_i32_i24_e32 v5, 0x70, v38
	s_waitcnt vmcnt(4)
	v_sub_f32_e32 v21, v19, v21
	v_sub_f32_e32 v22, v20, v22
	v_mul_i32_i24_e32 v6, 0x70, v40
	s_waitcnt vmcnt(2)
	v_sub_f32_e32 v15, v11, v15
	v_sub_f32_e32 v16, v12, v16
	v_mul_i32_i24_e32 v7, 0x70, v36
	v_fma_f32 v23, v23, 2.0, -v25
	v_fma_f32 v24, v24, 2.0, -v26
	s_waitcnt vmcnt(0)
	v_sub_f32_e32 v13, v9, v13
	v_sub_f32_e32 v14, v10, v14
	ds_write2_b64 v28, v[3:4], v[1:2] offset1:7
	v_mul_i32_i24_e32 v1, 0x70, v37
	v_add3_u32 v2, 0, v5, v46
	v_and_b32_e32 v8, 1, v39
	v_fma_f32 v19, v19, 2.0, -v21
	v_fma_f32 v20, v20, 2.0, -v22
	v_add3_u32 v3, 0, v6, v46
	v_fma_f32 v11, v11, 2.0, -v15
	v_fma_f32 v12, v12, 2.0, -v16
	v_add3_u32 v7, 0, v7, v46
	;; [unrolled: 3-line block ×3, first 2 shown]
	ds_write2_b64 v2, v[23:24], v[25:26] offset1:7
	ds_write2_b64 v3, v[19:20], v[21:22] offset1:7
	;; [unrolled: 1-line block ×3, first 2 shown]
	v_lshlrev_b32_e32 v2, 4, v8
	v_lshrrev_b32_e32 v12, 1, v35
	v_lshrrev_b32_e32 v11, 1, v39
	ds_write2_b64 v1, v[9:10], v[13:14] offset1:7
	s_waitcnt lgkmcnt(0)
	s_barrier
	buffer_gl0_inv
	global_load_dwordx4 v[3:6], v2, s[6:7]
	v_lshrrev_b32_e32 v13, 1, v38
	v_lshrrev_b32_e32 v14, 1, v40
	v_mul_u32_u24_e32 v1, 56, v39
	v_mul_lo_u16 v48, v39, 43
	v_mul_lo_u32 v12, v12, 6
	v_mul_lo_u32 v13, v13, 6
	v_mul_lo_u32 v14, v14, 6
	v_mul_i32_i24_e32 v9, 56, v38
	v_mul_i32_i24_e32 v10, 56, v40
	v_mul_u32_u24_e32 v11, 6, v11
	v_lshrrev_b16 v51, 8, v48
	v_add3_u32 v41, 0, v1, v46
	v_mul_i32_i24_e32 v2, 56, v35
	v_and_b32_e32 v15, 0xff, v35
	v_and_b32_e32 v16, 0xff, v38
	v_add3_u32 v43, 0, v9, v46
	v_add3_u32 v44, 0, v10, v46
	v_or_b32_e32 v9, v11, v8
	v_mul_lo_u16 v10, v51, 6
	v_or_b32_e32 v11, v12, v8
	v_or_b32_e32 v12, v13, v8
	;; [unrolled: 1-line block ×3, first 2 shown]
	v_add_nc_u32_e32 v1, 0x1400, v41
	v_add_nc_u32_e32 v13, 0x2400, v41
	v_add3_u32 v42, 0, v2, v46
	v_add_nc_u32_e32 v2, 0x1c00, v41
	v_mad_i32_i24 v45, 0xffffffc8, v36, v7
	v_mul_lo_u16 v49, 0xab, v15
	v_mul_lo_u16 v47, 0xab, v16
	ds_read_b64 v[15:16], v41
	ds_read_b64 v[23:24], v43
	;; [unrolled: 1-line block ×3, first 2 shown]
	v_mul_u32_u24_e32 v54, 56, v9
	v_sub_nc_u16 v56, v39, v10
	v_mul_lo_u32 v58, v11, 56
	v_mul_lo_u32 v59, v12, 56
	v_mul_lo_u32 v60, v8, 56
	ds_read2_b64 v[7:10], v1 offset0:60 offset1:200
	ds_read2_b64 v[11:14], v13 offset0:108 offset1:248
	;; [unrolled: 1-line block ×3, first 2 shown]
	ds_read_b64 v[27:28], v42
	ds_read_b64 v[29:30], v45
	ds_read_b64 v[31:32], v41 offset:12320
	v_lshrrev_b16 v52, 10, v49
	v_lshrrev_b16 v53, 10, v47
	v_add3_u32 v54, 0, v54, v46
	s_waitcnt vmcnt(0) lgkmcnt(0)
	v_add3_u32 v58, 0, v58, v46
	v_mul_lo_u16 v55, v52, 6
	v_mul_lo_u16 v57, v53, 6
	v_add3_u32 v59, 0, v59, v46
	s_barrier
	buffer_gl0_inv
	v_sub_nc_u16 v61, v35, v55
	v_sub_nc_u16 v62, v38, v57
	v_mul_u32_u24_sdwa v55, v56, v50 dst_sel:DWORD dst_unused:UNUSED_PAD src0_sel:BYTE_0 src1_sel:DWORD
	v_add3_u32 v60, 0, v60, v46
	v_cmp_gt_u32_e32 vcc_lo, 56, v0
	v_mul_u32_u24_sdwa v57, v61, v50 dst_sel:DWORD dst_unused:UNUSED_PAD src0_sel:BYTE_0 src1_sel:DWORD
	v_mul_u32_u24_sdwa v50, v62, v50 dst_sel:DWORD dst_unused:UNUSED_PAD src0_sel:BYTE_0 src1_sel:DWORD
	v_lshlrev_b32_e32 v55, 3, v55
	v_lshlrev_b32_e32 v57, 3, v57
	v_mul_f32_e32 v63, v4, v8
	v_mul_f32_e32 v64, v4, v7
	;; [unrolled: 1-line block ×16, first 2 shown]
	v_fmac_f32_e32 v63, v3, v7
	v_fma_f32 v7, v3, v8, -v64
	v_fmac_f32_e32 v67, v3, v9
	v_fma_f32 v8, v3, v10, -v68
	;; [unrolled: 2-line block ×4, first 2 shown]
	v_fmac_f32_e32 v73, v3, v19
	v_fmac_f32_e32 v75, v3, v29
	v_fma_f32 v12, v3, v20, -v74
	v_fma_f32 v3, v3, v30, -v4
	v_fmac_f32_e32 v69, v5, v13
	v_fma_f32 v10, v5, v14, -v70
	v_fmac_f32_e32 v76, v31, v5
	v_fma_f32 v13, v32, v5, -v6
	v_add_f32_e32 v14, v75, v71
	v_add_f32_e32 v20, v3, v11
	;; [unrolled: 1-line block ×7, first 2 shown]
	v_sub_f32_e32 v19, v3, v11
	v_add_f32_e32 v5, v16, v3
	v_sub_f32_e32 v21, v75, v71
	v_add_f32_e32 v72, v73, v76
	;; [unrolled: 2-line block ×3, first 2 shown]
	v_add_f32_e32 v12, v12, v13
	v_fma_f32 v15, -0.5, v14, v15
	v_fmac_f32_e32 v16, -0.5, v20
	v_add_f32_e32 v22, v27, v63
	v_add_f32_e32 v6, v28, v7
	v_sub_f32_e32 v30, v7, v9
	v_add_f32_e32 v7, v24, v8
	v_sub_f32_e32 v63, v63, v65
	v_fma_f32 v27, -0.5, v29, v27
	v_fmac_f32_e32 v28, -0.5, v31
	v_add_f32_e32 v32, v23, v67
	v_sub_f32_e32 v64, v8, v10
	v_sub_f32_e32 v67, v67, v69
	v_fma_f32 v23, -0.5, v68, v23
	v_fmac_f32_e32 v24, -0.5, v66
	v_add_f32_e32 v70, v25, v73
	v_sub_f32_e32 v73, v73, v76
	v_add_f32_e32 v3, v4, v71
	v_add_f32_e32 v4, v5, v11
	v_fma_f32 v25, -0.5, v72, v25
	v_fmac_f32_e32 v26, -0.5, v12
	v_fmamk_f32 v11, v19, 0xbf5db3d7, v15
	v_fmamk_f32 v12, v21, 0x3f5db3d7, v16
	v_fmac_f32_e32 v15, 0x3f5db3d7, v19
	v_fmac_f32_e32 v16, 0xbf5db3d7, v21
	v_add_f32_e32 v6, v6, v9
	v_add_f32_e32 v5, v22, v65
	;; [unrolled: 1-line block ×4, first 2 shown]
	v_fmamk_f32 v13, v30, 0xbf5db3d7, v27
	v_fmamk_f32 v14, v63, 0x3f5db3d7, v28
	v_fmac_f32_e32 v27, 0x3f5db3d7, v30
	v_fmac_f32_e32 v28, 0xbf5db3d7, v63
	v_add_f32_e32 v7, v32, v69
	v_fmamk_f32 v19, v64, 0xbf5db3d7, v23
	v_fmamk_f32 v20, v67, 0x3f5db3d7, v24
	v_add_f32_e32 v9, v70, v76
	v_fmac_f32_e32 v23, 0x3f5db3d7, v64
	v_fmac_f32_e32 v24, 0xbf5db3d7, v67
	v_fmamk_f32 v21, v74, 0xbf5db3d7, v25
	v_fmac_f32_e32 v25, 0x3f5db3d7, v74
	v_fmamk_f32 v22, v73, 0x3f5db3d7, v26
	v_fmac_f32_e32 v26, 0xbf5db3d7, v73
	ds_write2_b64 v54, v[3:4], v[11:12] offset1:14
	ds_write_b64 v54, v[15:16] offset:224
	ds_write2_b64 v58, v[5:6], v[13:14] offset1:14
	ds_write_b64 v58, v[27:28] offset:224
	;; [unrolled: 2-line block ×4, first 2 shown]
	v_lshlrev_b32_e32 v19, 3, v50
	s_waitcnt lgkmcnt(0)
	s_barrier
	buffer_gl0_inv
	s_clause 0x5
	global_load_dwordx4 v[3:6], v55, s[6:7] offset:32
	global_load_dwordx4 v[7:10], v57, s[6:7] offset:32
	;; [unrolled: 1-line block ×3, first 2 shown]
	global_load_dwordx2 v[15:16], v55, s[6:7] offset:48
	global_load_dwordx2 v[31:32], v57, s[6:7] offset:48
	;; [unrolled: 1-line block ×3, first 2 shown]
	v_mov_b32_e32 v19, 24
	v_add_nc_u32_e32 v21, 0x1800, v41
	v_add_nc_u32_e32 v27, 0x2000, v41
	;; [unrolled: 1-line block ×4, first 2 shown]
	v_mul_u32_u24_sdwa v20, v51, v19 dst_sel:DWORD dst_unused:UNUSED_PAD src0_sel:WORD_0 src1_sel:DWORD
	v_mul_u32_u24_sdwa v22, v52, v19 dst_sel:DWORD dst_unused:UNUSED_PAD src0_sel:WORD_0 src1_sel:DWORD
	;; [unrolled: 1-line block ×3, first 2 shown]
	v_add_nc_u32_e32 v64, 0x800, v41
	v_add_nc_u32_e32 v65, 0x2800, v41
	v_or_b32_sdwa v24, v20, v56 dst_sel:DWORD dst_unused:UNUSED_PAD src0_sel:DWORD src1_sel:BYTE_0
	v_or_b32_sdwa v25, v22, v61 dst_sel:DWORD dst_unused:UNUSED_PAD src0_sel:DWORD src1_sel:BYTE_0
	;; [unrolled: 1-line block ×3, first 2 shown]
	ds_read_b64 v[56:57], v44
	ds_read2_b64 v[19:22], v21 offset0:72 offset1:212
	v_mul_u32_u24_e32 v29, 56, v24
	v_mul_u32_u24_e32 v51, 56, v25
	;; [unrolled: 1-line block ×3, first 2 shown]
	ds_read2_b64 v[23:26], v23 offset0:48 offset1:188
	v_add3_u32 v66, 0, v29, v46
	ds_read2_b64 v[27:30], v27 offset0:96 offset1:236
	v_add3_u32 v67, 0, v51, v46
	v_add3_u32 v68, 0, v52, v46
	ds_read2_b64 v[50:53], v50 offset0:56 offset1:196
	ds_read_b64 v[58:59], v41
	ds_read_b64 v[60:61], v43
	;; [unrolled: 1-line block ×3, first 2 shown]
	s_waitcnt vmcnt(0) lgkmcnt(0)
	s_barrier
	buffer_gl0_inv
	v_mul_f32_e32 v71, v10, v22
	v_mul_f32_e32 v10, v10, v21
	;; [unrolled: 1-line block ×18, first 2 shown]
	v_fmac_f32_e32 v69, v3, v56
	v_fma_f32 v3, v3, v57, -v4
	v_fmac_f32_e32 v70, v5, v19
	v_fma_f32 v4, v5, v20, -v6
	;; [unrolled: 2-line block ×9, first 2 shown]
	v_sub_f32_e32 v12, v58, v70
	v_sub_f32_e32 v13, v59, v4
	;; [unrolled: 1-line block ×12, first 2 shown]
	v_fma_f32 v25, v58, 2.0, -v12
	v_fma_f32 v26, v59, 2.0, -v13
	;; [unrolled: 1-line block ×4, first 2 shown]
	v_add_f32_e32 v3, v12, v9
	v_fma_f32 v27, v62, 2.0, -v14
	v_fma_f32 v28, v63, 2.0, -v15
	;; [unrolled: 1-line block ×4, first 2 shown]
	v_sub_f32_e32 v6, v15, v16
	v_fma_f32 v30, v60, 2.0, -v23
	v_fma_f32 v31, v61, 2.0, -v24
	;; [unrolled: 1-line block ×4, first 2 shown]
	v_sub_f32_e32 v4, v13, v4
	v_add_f32_e32 v5, v14, v5
	v_add_f32_e32 v21, v23, v10
	v_sub_f32_e32 v22, v24, v8
	v_sub_f32_e32 v7, v25, v11
	;; [unrolled: 1-line block ×3, first 2 shown]
	v_fma_f32 v9, v12, 2.0, -v3
	v_sub_f32_e32 v11, v27, v20
	v_sub_f32_e32 v12, v28, v29
	;; [unrolled: 1-line block ×4, first 2 shown]
	v_fma_f32 v10, v13, 2.0, -v4
	v_fma_f32 v13, v14, 2.0, -v5
	v_fma_f32 v14, v15, 2.0, -v6
	v_fma_f32 v15, v23, 2.0, -v21
	v_fma_f32 v16, v24, 2.0, -v22
	v_fma_f32 v23, v25, 2.0, -v7
	v_fma_f32 v24, v26, 2.0, -v8
	v_fma_f32 v25, v27, 2.0, -v11
	v_fma_f32 v26, v28, 2.0, -v12
	v_fma_f32 v27, v30, 2.0, -v19
	v_fma_f32 v28, v31, 2.0, -v20
	ds_write2_b64 v66, v[7:8], v[3:4] offset0:84 offset1:126
	ds_write2_b64 v66, v[23:24], v[9:10] offset1:42
	ds_write2_b64 v67, v[25:26], v[13:14] offset1:42
	ds_write2_b64 v67, v[11:12], v[5:6] offset0:84 offset1:126
	ds_write2_b64 v68, v[27:28], v[15:16] offset1:42
	ds_write2_b64 v68, v[19:20], v[21:22] offset0:84 offset1:126
	s_waitcnt lgkmcnt(0)
	s_barrier
	buffer_gl0_inv
	ds_read2_b64 v[13:16], v64 offset0:80 offset1:220
	ds_read2_b64 v[9:12], v1 offset0:32 offset1:172
	;; [unrolled: 1-line block ×4, first 2 shown]
	ds_read_b64 v[31:32], v41
	ds_read_b64 v[29:30], v42
                                        ; kill: def $vgpr23 killed $sgpr0 killed $exec
                                        ; implicit-def: $vgpr28
                                        ; implicit-def: $vgpr26
                                        ; implicit-def: $vgpr24
	s_and_saveexec_b32 s15, vcc_lo
	s_cbranch_execz .LBB0_16
; %bb.15:
	ds_read_b64 v[19:20], v43
	ds_read_b64 v[21:22], v41 offset:4928
	ds_read_b64 v[23:24], v41 offset:7616
	;; [unrolled: 1-line block ×4, first 2 shown]
.LBB0_16:
	s_or_b32 exec_lo, exec_lo, s15
	v_lshrrev_b16 v64, 10, v48
	v_lshrrev_b16 v65, 12, v49
	v_mul_lo_u16 v48, v64, 24
	v_mul_lo_u16 v49, v65, 24
	v_and_b32_e32 v65, 0xffff, v65
	v_and_b32_e32 v64, 0xffff, v64
	v_sub_nc_u16 v48, v39, v48
	v_and_b32_e32 v66, 0xff, v48
	v_sub_nc_u16 v48, v35, v49
	v_lshlrev_b32_e32 v52, 5, v66
	v_and_b32_e32 v67, 0xff, v48
	v_mad_u32_u24 v64, 0x78, v64, v66
	global_load_dwordx4 v[48:51], v52, s[6:7] offset:176
	v_lshlrev_b32_e32 v60, 5, v67
	v_mad_u32_u24 v65, 0x78, v65, v67
	v_mul_u32_u24_e32 v64, 56, v64
	s_clause 0x2
	global_load_dwordx4 v[52:55], v52, s[6:7] offset:192
	global_load_dwordx4 v[56:59], v60, s[6:7] offset:176
	;; [unrolled: 1-line block ×3, first 2 shown]
	s_waitcnt vmcnt(0) lgkmcnt(0)
	v_mul_u32_u24_e32 v65, 56, v65
	v_add3_u32 v64, 0, v64, v46
	s_barrier
	buffer_gl0_inv
	v_add3_u32 v46, 0, v65, v46
	v_add_nc_u32_e32 v65, 0x800, v64
	v_add_nc_u32_e32 v66, 0x800, v46
	v_mul_f32_e32 v67, v49, v14
	v_mul_f32_e32 v49, v49, v13
	v_mul_f32_e32 v68, v51, v10
	v_mul_f32_e32 v51, v51, v9
	v_mul_f32_e32 v69, v53, v6
	v_mul_f32_e32 v53, v53, v5
	v_mul_f32_e32 v70, v55, v2
	v_mul_f32_e32 v55, v55, v1
	v_mul_f32_e32 v71, v57, v16
	v_mul_f32_e32 v57, v57, v15
	v_mul_f32_e32 v72, v59, v12
	v_mul_f32_e32 v59, v59, v11
	v_mul_f32_e32 v73, v61, v8
	v_mul_f32_e32 v61, v61, v7
	v_mul_f32_e32 v74, v63, v4
	v_mul_f32_e32 v63, v63, v3
	v_fmac_f32_e32 v67, v48, v13
	v_fma_f32 v13, v48, v14, -v49
	v_fmac_f32_e32 v68, v50, v9
	v_fma_f32 v9, v50, v10, -v51
	v_fmac_f32_e32 v69, v52, v5
	v_fma_f32 v6, v52, v6, -v53
	v_fmac_f32_e32 v70, v54, v1
	v_fma_f32 v14, v54, v2, -v55
	v_fmac_f32_e32 v71, v56, v15
	v_fma_f32 v1, v56, v16, -v57
	v_fmac_f32_e32 v72, v58, v11
	v_fma_f32 v5, v58, v12, -v59
	v_fmac_f32_e32 v73, v60, v7
	v_fma_f32 v10, v60, v8, -v61
	v_fmac_f32_e32 v74, v62, v3
	v_fma_f32 v16, v62, v4, -v63
	v_add_f32_e32 v2, v31, v67
	v_add_f32_e32 v3, v68, v69
	;; [unrolled: 1-line block ×6, first 2 shown]
	v_sub_f32_e32 v4, v67, v68
	v_sub_f32_e32 v7, v70, v69
	;; [unrolled: 1-line block ×4, first 2 shown]
	v_add_f32_e32 v57, v29, v71
	v_add_f32_e32 v58, v72, v73
	v_add_f32_e32 v76, v30, v1
	v_add_f32_e32 v77, v5, v10
	v_add_f32_e32 v63, v71, v74
	v_add_f32_e32 v81, v1, v16
	v_sub_f32_e32 v15, v13, v14
	v_sub_f32_e32 v51, v67, v70
	;; [unrolled: 1-line block ×6, first 2 shown]
	v_add_f32_e32 v68, v2, v68
	v_fma_f32 v1, -0.5, v3, v31
	v_fma_f32 v31, -0.5, v8, v31
	v_add_f32_e32 v8, v49, v9
	v_fma_f32 v2, -0.5, v50, v32
	v_sub_f32_e32 v48, v9, v6
	v_fmac_f32_e32 v32, -0.5, v55
	v_sub_f32_e32 v53, v13, v9
	v_sub_f32_e32 v54, v14, v6
	;; [unrolled: 1-line block ×7, first 2 shown]
	v_add_f32_e32 v84, v4, v7
	v_add_f32_e32 v85, v11, v12
	;; [unrolled: 1-line block ×3, first 2 shown]
	v_fma_f32 v3, -0.5, v58, v29
	v_add_f32_e32 v12, v76, v5
	v_fma_f32 v4, -0.5, v77, v30
	v_sub_f32_e32 v60, v5, v10
	v_sub_f32_e32 v78, v72, v73
	v_fma_f32 v29, -0.5, v63, v29
	v_fmac_f32_e32 v30, -0.5, v81
	v_sub_f32_e32 v56, v6, v14
	v_fmamk_f32 v5, v15, 0xbf737871, v1
	v_add_f32_e32 v57, v8, v6
	v_fmamk_f32 v6, v51, 0x3f737871, v2
	v_fmamk_f32 v7, v48, 0x3f737871, v31
	v_fmac_f32_e32 v31, 0xbf737871, v48
	v_fmamk_f32 v8, v52, 0xbf737871, v32
	v_fmac_f32_e32 v32, 0x3f737871, v52
	v_fmac_f32_e32 v1, 0x3f737871, v15
	;; [unrolled: 1-line block ×3, first 2 shown]
	v_sub_f32_e32 v80, v16, v10
	v_sub_f32_e32 v83, v10, v16
	v_add_f32_e32 v49, v53, v54
	v_add_f32_e32 v53, v61, v62
	;; [unrolled: 1-line block ×3, first 2 shown]
	v_fmamk_f32 v9, v59, 0xbf737871, v3
	v_add_f32_e32 v61, v12, v10
	v_fmamk_f32 v10, v71, 0x3f737871, v4
	v_sub_f32_e32 v75, v73, v74
	v_fmamk_f32 v11, v60, 0x3f737871, v29
	v_fmac_f32_e32 v29, 0xbf737871, v60
	v_fmamk_f32 v12, v78, 0xbf737871, v30
	v_fmac_f32_e32 v30, 0x3f737871, v78
	v_add_f32_e32 v50, v13, v56
	v_add_f32_e32 v13, v68, v69
	v_fmac_f32_e32 v3, 0x3f737871, v59
	v_fmac_f32_e32 v4, 0xbf737871, v71
	;; [unrolled: 1-line block ×10, first 2 shown]
	v_add_f32_e32 v55, v79, v80
	v_fmac_f32_e32 v9, 0xbf167918, v60
	v_fmac_f32_e32 v10, 0x3f167918, v78
	v_add_f32_e32 v54, v67, v75
	v_add_f32_e32 v56, v82, v83
	v_fmac_f32_e32 v11, 0xbf167918, v59
	v_fmac_f32_e32 v29, 0x3f167918, v59
	;; [unrolled: 1-line block ×4, first 2 shown]
	v_add_f32_e32 v13, v13, v70
	v_add_f32_e32 v14, v57, v14
	v_fmac_f32_e32 v3, 0x3f167918, v60
	v_fmac_f32_e32 v4, 0xbf167918, v78
	;; [unrolled: 1-line block ×10, first 2 shown]
	v_add_f32_e32 v15, v58, v74
	v_add_f32_e32 v16, v61, v16
	v_fmac_f32_e32 v9, 0x3e9e377a, v53
	v_fmac_f32_e32 v10, 0x3e9e377a, v55
	;; [unrolled: 1-line block ×8, first 2 shown]
	ds_write2_b64 v64, v[13:14], v[5:6] offset1:168
	ds_write2_b64 v65, v[7:8], v[31:32] offset0:80 offset1:248
	ds_write_b64 v64, v[1:2] offset:5376
	ds_write2_b64 v46, v[15:16], v[9:10] offset1:168
	ds_write2_b64 v66, v[11:12], v[29:30] offset0:80 offset1:248
	ds_write_b64 v46, v[3:4] offset:5376
	s_and_saveexec_b32 s15, vcc_lo
	s_cbranch_execz .LBB0_18
; %bb.17:
	v_lshrrev_b16 v1, 12, v47
	v_mov_b32_e32 v2, 5
	v_mov_b32_e32 v10, 3
	;; [unrolled: 1-line block ×3, first 2 shown]
	v_mul_lo_u16 v1, v1, 24
	v_lshlrev_b32_sdwa v10, v10, v34 dst_sel:DWORD dst_unused:UNUSED_PAD src0_sel:DWORD src1_sel:WORD_0
	v_sub_nc_u16 v9, v38, v1
	v_lshlrev_b32_sdwa v5, v2, v9 dst_sel:DWORD dst_unused:UNUSED_PAD src0_sel:DWORD src1_sel:BYTE_0
	v_mul_u32_u24_sdwa v9, v9, v11 dst_sel:DWORD dst_unused:UNUSED_PAD src0_sel:BYTE_0 src1_sel:DWORD
	s_clause 0x1
	global_load_dwordx4 v[1:4], v5, s[6:7] offset:192
	global_load_dwordx4 v[5:8], v5, s[6:7] offset:176
	v_add3_u32 v9, 0, v9, v10
	v_add_nc_u32_e32 v10, 0x1800, v9
	v_add_nc_u32_e32 v11, 0x2400, v9
	s_waitcnt vmcnt(1)
	v_mul_f32_e32 v12, v27, v4
	v_mul_f32_e32 v13, v25, v2
	s_waitcnt vmcnt(0)
	v_mul_f32_e32 v14, v23, v8
	v_mul_f32_e32 v15, v21, v6
	;; [unrolled: 1-line block ×6, first 2 shown]
	v_fma_f32 v12, v28, v3, -v12
	v_fma_f32 v4, v26, v1, -v13
	;; [unrolled: 1-line block ×4, first 2 shown]
	v_fmac_f32_e32 v6, v21, v5
	v_fmac_f32_e32 v8, v23, v7
	v_fmac_f32_e32 v16, v25, v1
	v_fmac_f32_e32 v29, v27, v3
	v_add_f32_e32 v1, v20, v13
	v_add_f32_e32 v15, v13, v12
	v_add_f32_e32 v24, v2, v4
	v_add_f32_e32 v31, v8, v16
	v_add_f32_e32 v27, v6, v29
	v_add_f32_e32 v3, v19, v6
	v_sub_f32_e32 v5, v2, v13
	v_sub_f32_e32 v7, v4, v12
	;; [unrolled: 1-line block ×10, first 2 shown]
	v_add_f32_e32 v32, v1, v2
	v_fma_f32 v2, -0.5, v15, v20
	v_fmac_f32_e32 v20, -0.5, v24
	v_fma_f32 v1, -0.5, v27, v19
	v_fmac_f32_e32 v19, -0.5, v31
	v_sub_f32_e32 v14, v8, v16
	v_add_f32_e32 v3, v3, v8
	v_add_f32_e32 v46, v5, v7
	;; [unrolled: 1-line block ×4, first 2 shown]
	v_fmamk_f32 v6, v21, 0xbf737871, v20
	v_fmac_f32_e32 v20, 0x3f737871, v21
	v_fmamk_f32 v5, v13, 0x3f737871, v19
	v_fmac_f32_e32 v19, 0xbf737871, v13
	v_sub_f32_e32 v26, v16, v29
	v_add_f32_e32 v7, v32, v4
	v_add_f32_e32 v16, v3, v16
	v_fmamk_f32 v4, v14, 0x3f737871, v2
	v_fmac_f32_e32 v2, 0xbf737871, v14
	v_fmamk_f32 v3, v28, 0xbf737871, v1
	v_fmac_f32_e32 v1, 0x3f737871, v28
	v_fmac_f32_e32 v20, 0x3f167918, v14
	;; [unrolled: 1-line block ×3, first 2 shown]
	v_add_f32_e32 v22, v25, v26
	v_fmac_f32_e32 v4, 0xbf167918, v21
	v_fmac_f32_e32 v2, 0x3f167918, v21
	;; [unrolled: 1-line block ×6, first 2 shown]
	v_add_f32_e32 v8, v7, v12
	v_add_f32_e32 v7, v16, v29
	v_fmac_f32_e32 v20, 0x3e9e377a, v15
	v_fmac_f32_e32 v19, 0x3e9e377a, v23
	;; [unrolled: 1-line block ×8, first 2 shown]
	ds_write2_b64 v10, v[7:8], v[19:20] offset0:72 offset1:240
	ds_write2_b64 v11, v[1:2], v[3:4] offset0:24 offset1:192
	ds_write_b64 v9, v[5:6] offset:12096
.LBB0_18:
	s_or_b32 exec_lo, exec_lo, s15
	v_cmp_gt_u64_e32 vcc_lo, s[12:13], v[17:18]
	s_waitcnt lgkmcnt(0)
	s_barrier
	buffer_gl0_inv
	s_or_b32 s12, s14, vcc_lo
	s_and_saveexec_b32 s13, s12
	s_cbranch_execz .LBB0_20
; %bb.19:
	v_subrev_nc_u32_e32 v1, 60, v39
	v_cmp_gt_u32_e32 vcc_lo, 0x1a4, v0
	v_mov_b32_e32 v2, 0
	v_add_nc_u32_e32 v3, 0xffffffb0, v39
	s_load_dwordx2 s[4:5], s[4:5], 0x8
	v_add_nc_u32_e32 v94, 0x2a00, v41
	v_cndmask_b32_e32 v6, v1, v40, vcc_lo
	v_cmp_gt_u32_e32 vcc_lo, 0x230, v0
	v_mov_b32_e32 v7, v2
	v_mov_b32_e32 v9, v2
	v_add_nc_u32_e32 v1, 0xffffff9c, v39
	v_mov_b32_e32 v14, v2
	v_cndmask_b32_e32 v8, v3, v38, vcc_lo
	v_lshlrev_b64 v[3:4], 3, v[6:7]
	v_mov_b32_e32 v16, v2
	v_add_nc_u32_e32 v5, 0x78, v6
	v_mov_b32_e32 v7, 3
	v_lshlrev_b64 v[9:10], 3, v[8:9]
	v_mul_lo_u32 v32, v17, v6
	v_add_co_u32 v3, vcc_lo, s6, v3
	v_add_co_ci_u32_e32 v4, vcc_lo, s7, v4, vcc_lo
	v_add_co_u32 v9, vcc_lo, s6, v9
	v_add_co_ci_u32_e32 v10, vcc_lo, s7, v10, vcc_lo
	v_cmp_gt_u32_e32 vcc_lo, 0x2bc, v0
	s_clause 0x1
	global_load_dwordx2 v[11:12], v[3:4], off offset:944
	global_load_dwordx2 v[9:10], v[9:10], off offset:944
	v_add_nc_u32_e32 v3, 0xffffff88, v39
	v_mul_lo_u32 v5, v17, v5
	v_cndmask_b32_e32 v13, v1, v35, vcc_lo
	v_cmp_gt_u32_e32 vcc_lo, 0x348, v0
	v_subrev_nc_u32_e32 v1, 40, v39
	s_lshl_b64 s[2:3], s[2:3], 3
	s_add_u32 s2, s8, s2
	v_cndmask_b32_e32 v15, v3, v39, vcc_lo
	v_lshlrev_b64 v[3:4], 3, v[13:14]
	v_bfe_u32 v30, v5, 8, 8
	s_addc_u32 s3, s9, s3
	v_lshlrev_b64 v[18:19], 3, v[15:16]
	v_add_co_u32 v3, vcc_lo, s6, v3
	v_add_co_ci_u32_e32 v4, vcc_lo, s7, v4, vcc_lo
	v_add_co_u32 v18, vcc_lo, s6, v18
	v_add_co_ci_u32_e32 v19, vcc_lo, s7, v19, vcc_lo
	v_cmp_gt_u32_e32 vcc_lo, 0x118, v0
	s_clause 0x1
	global_load_dwordx2 v[20:21], v[3:4], off offset:944
	global_load_dwordx2 v[18:19], v[18:19], off offset:944
	v_cndmask_b32_e32 v1, v1, v36, vcc_lo
	v_add_nc_u32_e32 v3, 0x78, v1
	v_mul_lo_u32 v4, v17, v1
	v_mul_lo_u32 v3, v17, v3
	v_bfe_u32 v16, v4, 8, 8
	v_lshlrev_b32_sdwa v4, v7, v4 dst_sel:DWORD dst_unused:UNUSED_PAD src0_sel:DWORD src1_sel:BYTE_0
	v_bfe_u32 v14, v3, 8, 8
	v_lshlrev_b32_sdwa v3, v7, v3 dst_sel:DWORD dst_unused:UNUSED_PAD src0_sel:DWORD src1_sel:BYTE_0
	v_lshl_or_b32 v16, v16, 3, 0x800
	v_lshl_or_b32 v14, v14, 3, 0x800
	s_waitcnt lgkmcnt(0)
	s_clause 0x1
	global_load_dwordx2 v[22:23], v3, s[4:5]
	global_load_dwordx2 v[24:25], v14, s[4:5]
	v_lshlrev_b32_sdwa v3, v7, v5 dst_sel:DWORD dst_unused:UNUSED_PAD src0_sel:DWORD src1_sel:BYTE_0
	s_clause 0x1
	global_load_dwordx2 v[26:27], v4, s[4:5]
	global_load_dwordx2 v[28:29], v16, s[4:5]
	v_lshl_or_b32 v4, v30, 3, 0x800
	s_clause 0x1
	global_load_dwordx2 v[30:31], v3, s[4:5]
	global_load_dwordx2 v[46:47], v4, s[4:5]
	v_bfe_u32 v3, v32, 8, 8
	v_lshlrev_b32_sdwa v4, v7, v32 dst_sel:DWORD dst_unused:UNUSED_PAD src0_sel:DWORD src1_sel:BYTE_0
	v_lshl_or_b32 v3, v3, 3, 0x800
	s_clause 0x1
	global_load_dwordx2 v[48:49], v4, s[4:5]
	global_load_dwordx2 v[50:51], v3, s[4:5]
	v_add_nc_u32_e32 v3, 0x78, v8
	v_mul_lo_u32 v4, v17, v8
	v_sub_nc_u32_e32 v8, v38, v8
	v_mul_lo_u32 v3, v17, v3
	v_add_nc_u32_e32 v8, v8, v38
	v_bfe_u32 v14, v4, 8, 8
	v_lshlrev_b32_sdwa v4, v7, v4 dst_sel:DWORD dst_unused:UNUSED_PAD src0_sel:DWORD src1_sel:BYTE_0
	v_bfe_u32 v5, v3, 8, 8
	v_lshlrev_b32_sdwa v3, v7, v3 dst_sel:DWORD dst_unused:UNUSED_PAD src0_sel:DWORD src1_sel:BYTE_0
	v_lshl_or_b32 v5, v5, 3, 0x800
	s_clause 0x1
	global_load_dwordx2 v[52:53], v3, s[4:5]
	global_load_dwordx2 v[54:55], v5, s[4:5]
	v_lshlrev_b64 v[2:3], 3, v[1:2]
	v_lshl_or_b32 v5, v14, 3, 0x800
	v_and_b32_e32 v14, 0xff, v37
	s_clause 0x1
	global_load_dwordx2 v[56:57], v4, s[4:5]
	global_load_dwordx2 v[58:59], v5, s[4:5]
	v_add_co_u32 v2, vcc_lo, s6, v2
	v_add_co_ci_u32_e32 v3, vcc_lo, s7, v3, vcc_lo
	v_add_nc_u32_e32 v4, 0x78, v13
	v_mul_lo_u16 v5, 0x89, v14
	v_mul_lo_u32 v14, v17, v15
	global_load_dwordx2 v[60:61], v[2:3], off offset:944
	v_mul_lo_u32 v3, v17, v13
	v_mul_lo_u32 v2, v17, v4
	v_lshrrev_b16 v5, 14, v5
	v_add_nc_u32_e32 v4, 0x78, v15
	v_cmp_lt_u32_e32 vcc_lo, 0x347, v0
	v_sub_nc_u32_e32 v13, v35, v13
	v_lshlrev_b32_sdwa v39, v7, v14 dst_sel:DWORD dst_unused:UNUSED_PAD src0_sel:DWORD src1_sel:BYTE_0
	v_mul_lo_u16 v5, 0x78, v5
	v_mul_lo_u32 v4, v17, v4
	v_bfe_u32 v16, v2, 8, 8
	v_lshlrev_b32_sdwa v2, v7, v2 dst_sel:DWORD dst_unused:UNUSED_PAD src0_sel:DWORD src1_sel:BYTE_0
	v_lshlrev_b32_sdwa v32, v7, v3 dst_sel:DWORD dst_unused:UNUSED_PAD src0_sel:DWORD src1_sel:BYTE_0
	v_sub_nc_u16 v5, v37, v5
	v_bfe_u32 v3, v3, 8, 8
	v_lshl_or_b32 v16, v16, 3, 0x800
	s_clause 0x1
	global_load_dwordx2 v[62:63], v2, s[4:5]
	global_load_dwordx2 v[64:65], v16, s[4:5]
	v_bfe_u32 v66, v4, 8, 8
	v_bfe_u32 v2, v14, 8, 8
	v_and_b32_e32 v86, 0xff, v5
	v_lshl_or_b32 v3, v3, 3, 0x800
	v_lshlrev_b32_sdwa v4, v7, v4 dst_sel:DWORD dst_unused:UNUSED_PAD src0_sel:DWORD src1_sel:BYTE_0
	v_lshl_or_b32 v5, v66, 3, 0x800
	v_lshl_or_b32 v2, v2, 3, 0x800
	s_clause 0x1
	global_load_dwordx2 v[66:67], v32, s[4:5]
	global_load_dwordx2 v[68:69], v3, s[4:5]
	v_lshlrev_b32_e32 v3, 3, v86
	s_clause 0x3
	global_load_dwordx2 v[70:71], v4, s[4:5]
	global_load_dwordx2 v[72:73], v5, s[4:5]
	;; [unrolled: 1-line block ×4, first 2 shown]
	global_load_dwordx2 v[78:79], v3, s[6:7] offset:944
	v_add_nc_u32_e32 v2, 0x78, v86
	v_mul_lo_u32 v3, v17, v86
	v_cndmask_b32_e64 v0, 0, 0xf0, vcc_lo
	v_add_nc_u32_e32 v32, v13, v35
	v_mul_lo_u32 v2, v17, v2
	v_bfe_u32 v5, v3, 8, 8
	v_lshlrev_b32_sdwa v3, v7, v3 dst_sel:DWORD dst_unused:UNUSED_PAD src0_sel:DWORD src1_sel:BYTE_0
	v_bfe_u32 v4, v2, 8, 8
	v_lshlrev_b32_sdwa v2, v7, v2 dst_sel:DWORD dst_unused:UNUSED_PAD src0_sel:DWORD src1_sel:BYTE_0
	v_lshl_or_b32 v5, v5, 3, 0x800
	v_lshl_or_b32 v4, v4, 3, 0x800
	s_clause 0x3
	global_load_dwordx2 v[16:17], v2, s[4:5]
	global_load_dwordx2 v[80:81], v4, s[4:5]
	;; [unrolled: 1-line block ×4, first 2 shown]
	v_add_nc_u32_e32 v2, 0x2000, v41
	ds_read2_b64 v[2:5], v2 offset0:96 offset1:236
	s_waitcnt vmcnt(29) lgkmcnt(0)
	v_mul_f32_e32 v39, v12, v5
	v_mul_f32_e32 v14, v12, v4
	s_waitcnt vmcnt(28)
	v_mul_f32_e32 v12, v10, v2
	v_mul_f32_e32 v88, v10, v3
	v_fmac_f32_e32 v39, v11, v4
	v_add_nc_u32_e32 v4, 0x1800, v41
	v_fma_f32 v87, v11, v5, -v14
	v_fma_f32 v89, v9, v3, -v12
	v_fmac_f32_e32 v88, v9, v2
	v_sub_nc_u32_e32 v14, v40, v6
	ds_read2_b64 v[2:5], v4 offset0:72 offset1:212
	s_waitcnt vmcnt(27) lgkmcnt(0)
	v_mul_f32_e32 v90, v21, v5
	s_waitcnt vmcnt(26)
	v_mul_f32_e32 v92, v19, v3
	v_mul_f32_e32 v9, v21, v4
	;; [unrolled: 1-line block ×3, first 2 shown]
	v_fmac_f32_e32 v90, v20, v4
	v_mul_i32_i24_e32 v4, 56, v37
	v_fmac_f32_e32 v92, v18, v2
	v_lshlrev_b32_sdwa v2, v7, v34 dst_sel:DWORD dst_unused:UNUSED_PAD src0_sel:DWORD src1_sel:WORD_0
	v_fma_f32 v93, v18, v3, -v10
	v_fma_f32 v91, v20, v5, -v9
	v_add_nc_u32_e32 v5, v15, v0
	ds_read_b64 v[9:10], v44
	v_add3_u32 v34, 0, v4, v2
	v_mad_u64_u32 v[2:3], null, s10, v33, 0
	v_mad_u64_u32 v[6:7], null, s0, v5, 0
	v_add_nc_u32_e32 v44, v14, v40
	ds_read_b64 v[11:12], v43
	ds_read_b64 v[18:19], v42
	;; [unrolled: 1-line block ×4, first 2 shown]
	v_add_nc_u32_e32 v15, 0x78, v5
	v_mov_b32_e32 v0, v3
	v_mad_u64_u32 v[13:14], null, s0, v15, 0
	v_mad_u64_u32 v[3:4], null, s11, v33, v[0:1]
	s_waitcnt vmcnt(24)
	v_mul_f32_e32 v0, v23, v25
	v_mul_f32_e32 v35, v22, v25
	s_waitcnt vmcnt(22)
	v_mul_f32_e32 v4, v27, v29
	v_mul_f32_e32 v38, v26, v29
	s_waitcnt vmcnt(20)
	v_mul_f32_e32 v43, v30, v47
	v_fma_f32 v40, v22, v24, -v0
	v_mul_f32_e32 v0, v31, v47
	v_fmac_f32_e32 v35, v23, v24
	v_mad_u64_u32 v[22:23], null, s0, v32, 0
	v_mad_u64_u32 v[24:25], null, s0, v8, 0
	v_fma_f32 v47, v30, v46, -v0
	v_mov_b32_e32 v0, v7
	v_fma_f32 v45, v26, v28, -v4
	s_waitcnt vmcnt(18)
	v_mul_f32_e32 v7, v49, v51
	v_add_nc_u32_e32 v33, 0x78, v32
	v_lshlrev_b64 v[2:3], 3, v[2:3]
	v_mad_u64_u32 v[4:5], null, s1, v5, v[0:1]
	v_mov_b32_e32 v5, v23
	v_fmac_f32_e32 v43, v31, v46
	v_mul_f32_e32 v46, v48, v51
	v_fma_f32 v48, v48, v50, -v7
	v_mov_b32_e32 v7, v25
	v_mad_u64_u32 v[25:26], null, s1, v32, v[5:6]
	v_fmac_f32_e32 v38, v27, v28
	v_mad_u64_u32 v[26:27], null, s0, v33, 0
	v_fmac_f32_e32 v46, v49, v50
	v_add_co_u32 v49, vcc_lo, s2, v2
	v_mov_b32_e32 v0, v14
	v_mad_u64_u32 v[28:29], null, s1, v8, v[7:8]
	v_mov_b32_e32 v7, v4
	v_add_co_ci_u32_e32 v50, vcc_lo, s3, v3, vcc_lo
	ds_read2_b64 v[2:5], v94 offset0:56 offset1:196
	v_add_nc_u32_e32 v8, 0x78, v8
	v_mad_u64_u32 v[14:15], null, s1, v15, v[0:1]
	v_mov_b32_e32 v0, v27
	v_lshlrev_b64 v[6:7], 3, v[6:7]
	v_mad_u64_u32 v[29:30], null, s0, v8, 0
	v_mov_b32_e32 v23, v25
	v_mad_u64_u32 v[31:32], null, s1, v33, v[0:1]
	v_lshlrev_b64 v[13:14], 3, v[13:14]
	v_mov_b32_e32 v25, v28
	s_waitcnt vmcnt(16)
	v_mul_f32_e32 v28, v52, v55
	v_mov_b32_e32 v0, v30
	v_add_co_u32 v6, vcc_lo, v49, v6
	v_mov_b32_e32 v27, v31
	v_lshlrev_b64 v[22:23], 3, v[22:23]
	v_mad_u64_u32 v[30:31], null, s1, v8, v[0:1]
	s_waitcnt vmcnt(13) lgkmcnt(0)
	v_mul_f32_e32 v8, v61, v2
	v_add_co_ci_u32_e32 v7, vcc_lo, v50, v7, vcc_lo
	v_add_co_u32 v13, vcc_lo, v49, v13
	v_lshlrev_b64 v[26:27], 3, v[26:27]
	v_mul_f32_e32 v15, v53, v55
	v_fmac_f32_e32 v28, v53, v54
	v_mul_f32_e32 v53, v61, v3
	v_add_co_ci_u32_e32 v14, vcc_lo, v50, v14, vcc_lo
	v_add_co_u32 v22, vcc_lo, v49, v22
	v_fma_f32 v8, v60, v3, -v8
	ds_read_b64 v[31:32], v34
	v_mad_u64_u32 v[33:34], null, s0, v44, 0
	v_add_co_ci_u32_e32 v23, vcc_lo, v50, v23, vcc_lo
	v_fmac_f32_e32 v53, v60, v2
	v_add_co_u32 v2, vcc_lo, v49, v26
	v_mul_f32_e32 v0, v57, v59
	v_add_co_ci_u32_e32 v3, vcc_lo, v50, v27, vcc_lo
	v_sub_f32_e32 v27, v21, v8
	s_waitcnt vmcnt(11)
	v_mul_f32_e32 v8, v63, v65
	v_fma_f32 v15, v52, v54, -v15
	v_mul_f32_e32 v51, v56, v59
	v_fma_f32 v52, v56, v58, -v0
	v_mov_b32_e32 v0, v34
	v_sub_f32_e32 v56, v11, v88
	v_mul_f32_e32 v34, v62, v65
	v_fma_f32 v60, v62, v64, -v8
	s_waitcnt vmcnt(9)
	v_mul_f32_e32 v8, v67, v69
	v_fmac_f32_e32 v51, v57, v58
	v_sub_f32_e32 v53, v20, v53
	v_sub_f32_e32 v57, v19, v91
	v_fmac_f32_e32 v34, v63, v64
	v_mul_f32_e32 v61, v66, v69
	s_waitcnt vmcnt(7)
	v_mul_f32_e32 v26, v71, v73
	v_mul_f32_e32 v63, v70, v73
	v_fma_f32 v64, v66, v68, -v8
	s_waitcnt vmcnt(4)
	v_mul_f32_e32 v66, v4, v79
	v_fma_f32 v73, v11, 2.0, -v56
	v_mul_f32_e32 v11, v5, v79
	v_sub_f32_e32 v54, v10, v87
	v_sub_f32_e32 v39, v9, v39
	;; [unrolled: 1-line block ×6, first 2 shown]
	v_fmac_f32_e32 v61, v67, v68
	v_mul_f32_e32 v8, v75, v77
	v_mul_f32_e32 v65, v74, v77
	v_fma_f32 v67, v20, 2.0, -v53
	v_fma_f32 v77, v19, 2.0, -v57
	v_fmac_f32_e32 v63, v71, v72
	v_fma_f32 v19, v5, v78, -v66
	v_fmac_f32_e32 v11, v4, v78
	v_mul_f32_e32 v5, v53, v35
	v_mul_f32_e32 v4, v27, v35
	v_fma_f32 v21, v21, 2.0, -v27
	v_fma_f32 v68, v10, 2.0, -v54
	;; [unrolled: 1-line block ×7, first 2 shown]
	v_fmac_f32_e32 v65, v75, v76
	v_mul_f32_e32 v9, v67, v38
	v_mul_f32_e32 v35, v39, v43
	;; [unrolled: 1-line block ×6, first 2 shown]
	v_fma_f32 v5, v27, v40, -v5
	v_fmac_f32_e32 v4, v53, v40
	v_mul_f32_e32 v53, v62, v63
	v_mul_f32_e32 v40, v59, v63
	s_waitcnt lgkmcnt(0)
	v_sub_f32_e32 v63, v32, v19
	v_fma_f32 v70, v70, v72, -v26
	v_fma_f32 v71, v74, v76, -v8
	v_mul_f32_e32 v8, v21, v38
	v_mul_f32_e32 v41, v69, v46
	;; [unrolled: 1-line block ×5, first 2 shown]
	v_fma_f32 v9, v21, v45, -v9
	v_mul_f32_e32 v61, v89, v65
	v_mul_f32_e32 v42, v88, v65
	v_sub_f32_e32 v65, v31, v11
	v_fma_f32 v21, v55, v15, -v43
	v_fmac_f32_e32 v20, v56, v15
	v_fma_f32 v27, v12, v52, -v28
	v_fma_f32 v15, v32, 2.0, -v63
	s_waitcnt vmcnt(2)
	v_mul_f32_e32 v12, v16, v81
	s_waitcnt vmcnt(0)
	v_mul_f32_e32 v32, v82, v85
	v_mul_f32_e32 v18, v68, v46
	;; [unrolled: 1-line block ×4, first 2 shown]
	v_fmac_f32_e32 v8, v67, v45
	v_fma_f32 v19, v68, v48, -v41
	v_fma_f32 v41, v59, v70, -v53
	v_fmac_f32_e32 v40, v62, v70
	v_fma_f32 v43, v88, v71, -v61
	v_fmac_f32_e32 v42, v89, v71
	v_fma_f32 v28, v31, 2.0, -v65
	v_mul_f32_e32 v31, v17, v81
	v_mul_f32_e32 v45, v83, v85
	v_fmac_f32_e32 v12, v17, v80
	v_fmac_f32_e32 v32, v83, v84
	v_fma_f32 v11, v54, v47, -v35
	v_fmac_f32_e32 v10, v39, v47
	v_fma_f32 v35, v57, v60, -v46
	;; [unrolled: 2-line block ×3, first 2 shown]
	v_fmac_f32_e32 v38, v87, v64
	global_store_dwordx2 v[6:7], v[42:43], off
	global_store_dwordx2 v[13:14], v[40:41], off
	v_fma_f32 v13, v16, v80, -v31
	v_fma_f32 v14, v82, v84, -v45
	v_mul_f32_e32 v7, v65, v12
	v_mul_f32_e32 v6, v63, v12
	;; [unrolled: 1-line block ×4, first 2 shown]
	global_store_dwordx2 v[22:23], v[38:39], off
	global_store_dwordx2 v[2:3], v[34:35], off
	v_lshlrev_b64 v[2:3], 3, v[24:25]
	v_fma_f32 v7, v63, v13, -v7
	v_fmac_f32_e32 v6, v65, v13
	v_fma_f32 v13, v15, v14, -v16
	v_fmac_f32_e32 v12, v28, v14
	v_mad_u64_u32 v[14:15], null, s1, v44, v[0:1]
	v_lshlrev_b64 v[15:16], 3, v[29:30]
	v_add_nc_u32_e32 v17, 0x78, v44
	v_add_co_u32 v2, vcc_lo, v49, v2
	v_fmac_f32_e32 v26, v73, v52
	v_add_co_ci_u32_e32 v3, vcc_lo, v50, v3, vcc_lo
	v_mad_u64_u32 v[22:23], null, s0, v17, 0
	v_mov_b32_e32 v34, v14
	v_add_co_u32 v14, vcc_lo, v49, v15
	v_add_co_ci_u32_e32 v15, vcc_lo, v50, v16, vcc_lo
	global_store_dwordx2 v[2:3], v[26:27], off
	v_sub_nc_u32_e32 v3, v36, v1
	v_mov_b32_e32 v2, v23
	global_store_dwordx2 v[14:15], v[20:21], off
	v_lshlrev_b64 v[0:1], 3, v[33:34]
	v_fmac_f32_e32 v18, v69, v48
	v_add_nc_u32_e32 v20, v3, v36
	v_mad_u64_u32 v[2:3], null, s1, v17, v[2:3]
	v_sub_nc_u32_e32 v3, v37, v86
	v_add_co_u32 v0, vcc_lo, v49, v0
	v_mad_u64_u32 v[14:15], null, s0, v20, 0
	v_add_co_ci_u32_e32 v1, vcc_lo, v50, v1, vcc_lo
	v_add_nc_u32_e32 v21, 0x78, v20
	v_mov_b32_e32 v23, v2
	v_add_nc_u32_e32 v24, v3, v37
	global_store_dwordx2 v[0:1], v[18:19], off
	v_mov_b32_e32 v2, v15
	v_mad_u64_u32 v[0:1], null, s0, v21, 0
	v_mad_u64_u32 v[16:17], null, s0, v24, 0
	;; [unrolled: 1-line block ×3, first 2 shown]
	v_lshlrev_b64 v[18:19], 3, v[22:23]
	v_add_nc_u32_e32 v23, 0x78, v24
	v_mov_b32_e32 v3, v17
	v_mad_u64_u32 v[20:21], null, s1, v21, v[1:2]
	v_mad_u64_u32 v[21:22], null, s0, v23, 0
	v_add_co_u32 v17, vcc_lo, v49, v18
	v_mov_b32_e32 v15, v2
	v_mad_u64_u32 v[2:3], null, s1, v24, v[3:4]
	v_add_co_ci_u32_e32 v18, vcc_lo, v50, v19, vcc_lo
	v_mov_b32_e32 v3, v22
	v_mov_b32_e32 v1, v20
	global_store_dwordx2 v[17:18], v[10:11], off
	v_lshlrev_b64 v[10:11], 3, v[14:15]
	v_mad_u64_u32 v[14:15], null, s1, v23, v[3:4]
	v_mov_b32_e32 v17, v2
	v_lshlrev_b64 v[0:1], 3, v[0:1]
	v_add_co_u32 v2, vcc_lo, v49, v10
	v_add_co_ci_u32_e32 v3, vcc_lo, v50, v11, vcc_lo
	v_mov_b32_e32 v22, v14
	v_lshlrev_b64 v[10:11], 3, v[16:17]
	v_add_co_u32 v0, vcc_lo, v49, v0
	v_add_co_ci_u32_e32 v1, vcc_lo, v50, v1, vcc_lo
	v_lshlrev_b64 v[14:15], 3, v[21:22]
	v_add_co_u32 v10, vcc_lo, v49, v10
	v_add_co_ci_u32_e32 v11, vcc_lo, v50, v11, vcc_lo
	v_add_co_u32 v14, vcc_lo, v49, v14
	v_add_co_ci_u32_e32 v15, vcc_lo, v50, v15, vcc_lo
	global_store_dwordx2 v[2:3], v[8:9], off
	global_store_dwordx2 v[0:1], v[4:5], off
	;; [unrolled: 1-line block ×4, first 2 shown]
.LBB0_20:
	s_endpgm
	.section	.rodata,"a",@progbits
	.p2align	6, 0x0
	.amdhsa_kernel fft_rtc_back_len240_factors_2_3_4_5_2_wgs_140_tpt_20_dim3_sp_ip_CI_sbcc_twdbase8_2step_dirReg
		.amdhsa_group_segment_fixed_size 0
		.amdhsa_private_segment_fixed_size 0
		.amdhsa_kernarg_size 88
		.amdhsa_user_sgpr_count 6
		.amdhsa_user_sgpr_private_segment_buffer 1
		.amdhsa_user_sgpr_dispatch_ptr 0
		.amdhsa_user_sgpr_queue_ptr 0
		.amdhsa_user_sgpr_kernarg_segment_ptr 1
		.amdhsa_user_sgpr_dispatch_id 0
		.amdhsa_user_sgpr_flat_scratch_init 0
		.amdhsa_user_sgpr_private_segment_size 0
		.amdhsa_wavefront_size32 1
		.amdhsa_uses_dynamic_stack 0
		.amdhsa_system_sgpr_private_segment_wavefront_offset 0
		.amdhsa_system_sgpr_workgroup_id_x 1
		.amdhsa_system_sgpr_workgroup_id_y 0
		.amdhsa_system_sgpr_workgroup_id_z 0
		.amdhsa_system_sgpr_workgroup_info 0
		.amdhsa_system_vgpr_workitem_id 0
		.amdhsa_next_free_vgpr 95
		.amdhsa_next_free_sgpr 26
		.amdhsa_reserve_vcc 1
		.amdhsa_reserve_flat_scratch 0
		.amdhsa_float_round_mode_32 0
		.amdhsa_float_round_mode_16_64 0
		.amdhsa_float_denorm_mode_32 3
		.amdhsa_float_denorm_mode_16_64 3
		.amdhsa_dx10_clamp 1
		.amdhsa_ieee_mode 1
		.amdhsa_fp16_overflow 0
		.amdhsa_workgroup_processor_mode 1
		.amdhsa_memory_ordered 1
		.amdhsa_forward_progress 0
		.amdhsa_shared_vgpr_count 0
		.amdhsa_exception_fp_ieee_invalid_op 0
		.amdhsa_exception_fp_denorm_src 0
		.amdhsa_exception_fp_ieee_div_zero 0
		.amdhsa_exception_fp_ieee_overflow 0
		.amdhsa_exception_fp_ieee_underflow 0
		.amdhsa_exception_fp_ieee_inexact 0
		.amdhsa_exception_int_div_zero 0
	.end_amdhsa_kernel
	.text
.Lfunc_end0:
	.size	fft_rtc_back_len240_factors_2_3_4_5_2_wgs_140_tpt_20_dim3_sp_ip_CI_sbcc_twdbase8_2step_dirReg, .Lfunc_end0-fft_rtc_back_len240_factors_2_3_4_5_2_wgs_140_tpt_20_dim3_sp_ip_CI_sbcc_twdbase8_2step_dirReg
                                        ; -- End function
	.section	.AMDGPU.csdata,"",@progbits
; Kernel info:
; codeLenInByte = 9208
; NumSgprs: 28
; NumVgprs: 95
; ScratchSize: 0
; MemoryBound: 0
; FloatMode: 240
; IeeeMode: 1
; LDSByteSize: 0 bytes/workgroup (compile time only)
; SGPRBlocks: 3
; VGPRBlocks: 11
; NumSGPRsForWavesPerEU: 28
; NumVGPRsForWavesPerEU: 95
; Occupancy: 10
; WaveLimiterHint : 1
; COMPUTE_PGM_RSRC2:SCRATCH_EN: 0
; COMPUTE_PGM_RSRC2:USER_SGPR: 6
; COMPUTE_PGM_RSRC2:TRAP_HANDLER: 0
; COMPUTE_PGM_RSRC2:TGID_X_EN: 1
; COMPUTE_PGM_RSRC2:TGID_Y_EN: 0
; COMPUTE_PGM_RSRC2:TGID_Z_EN: 0
; COMPUTE_PGM_RSRC2:TIDIG_COMP_CNT: 0
	.text
	.p2alignl 6, 3214868480
	.fill 48, 4, 3214868480
	.type	__hip_cuid_14a877dd0c8927c6,@object ; @__hip_cuid_14a877dd0c8927c6
	.section	.bss,"aw",@nobits
	.globl	__hip_cuid_14a877dd0c8927c6
__hip_cuid_14a877dd0c8927c6:
	.byte	0                               ; 0x0
	.size	__hip_cuid_14a877dd0c8927c6, 1

	.ident	"AMD clang version 19.0.0git (https://github.com/RadeonOpenCompute/llvm-project roc-6.4.0 25133 c7fe45cf4b819c5991fe208aaa96edf142730f1d)"
	.section	".note.GNU-stack","",@progbits
	.addrsig
	.addrsig_sym __hip_cuid_14a877dd0c8927c6
	.amdgpu_metadata
---
amdhsa.kernels:
  - .args:
      - .actual_access:  read_only
        .address_space:  global
        .offset:         0
        .size:           8
        .value_kind:     global_buffer
      - .address_space:  global
        .offset:         8
        .size:           8
        .value_kind:     global_buffer
      - .actual_access:  read_only
        .address_space:  global
        .offset:         16
        .size:           8
        .value_kind:     global_buffer
      - .actual_access:  read_only
        .address_space:  global
        .offset:         24
        .size:           8
        .value_kind:     global_buffer
      - .offset:         32
        .size:           8
        .value_kind:     by_value
      - .actual_access:  read_only
        .address_space:  global
        .offset:         40
        .size:           8
        .value_kind:     global_buffer
      - .actual_access:  read_only
        .address_space:  global
        .offset:         48
        .size:           8
        .value_kind:     global_buffer
      - .offset:         56
        .size:           4
        .value_kind:     by_value
      - .actual_access:  read_only
        .address_space:  global
        .offset:         64
        .size:           8
        .value_kind:     global_buffer
      - .actual_access:  read_only
        .address_space:  global
        .offset:         72
        .size:           8
        .value_kind:     global_buffer
      - .address_space:  global
        .offset:         80
        .size:           8
        .value_kind:     global_buffer
    .group_segment_fixed_size: 0
    .kernarg_segment_align: 8
    .kernarg_segment_size: 88
    .language:       OpenCL C
    .language_version:
      - 2
      - 0
    .max_flat_workgroup_size: 140
    .name:           fft_rtc_back_len240_factors_2_3_4_5_2_wgs_140_tpt_20_dim3_sp_ip_CI_sbcc_twdbase8_2step_dirReg
    .private_segment_fixed_size: 0
    .sgpr_count:     28
    .sgpr_spill_count: 0
    .symbol:         fft_rtc_back_len240_factors_2_3_4_5_2_wgs_140_tpt_20_dim3_sp_ip_CI_sbcc_twdbase8_2step_dirReg.kd
    .uniform_work_group_size: 1
    .uses_dynamic_stack: false
    .vgpr_count:     95
    .vgpr_spill_count: 0
    .wavefront_size: 32
    .workgroup_processor_mode: 1
amdhsa.target:   amdgcn-amd-amdhsa--gfx1030
amdhsa.version:
  - 1
  - 2
...

	.end_amdgpu_metadata
